;; amdgpu-corpus repo=ROCm/rocFFT kind=compiled arch=gfx1030 opt=O3
	.text
	.amdgcn_target "amdgcn-amd-amdhsa--gfx1030"
	.amdhsa_code_object_version 6
	.protected	fft_rtc_back_len2000_factors_5_5_5_16_wgs_125_tpt_125_halfLds_sp_op_CI_CI_unitstride_sbrr_dirReg ; -- Begin function fft_rtc_back_len2000_factors_5_5_5_16_wgs_125_tpt_125_halfLds_sp_op_CI_CI_unitstride_sbrr_dirReg
	.globl	fft_rtc_back_len2000_factors_5_5_5_16_wgs_125_tpt_125_halfLds_sp_op_CI_CI_unitstride_sbrr_dirReg
	.p2align	8
	.type	fft_rtc_back_len2000_factors_5_5_5_16_wgs_125_tpt_125_halfLds_sp_op_CI_CI_unitstride_sbrr_dirReg,@function
fft_rtc_back_len2000_factors_5_5_5_16_wgs_125_tpt_125_halfLds_sp_op_CI_CI_unitstride_sbrr_dirReg: ; @fft_rtc_back_len2000_factors_5_5_5_16_wgs_125_tpt_125_halfLds_sp_op_CI_CI_unitstride_sbrr_dirReg
; %bb.0:
	s_clause 0x2
	s_load_dwordx4 s[12:15], s[4:5], 0x0
	s_load_dwordx4 s[8:11], s[4:5], 0x58
	;; [unrolled: 1-line block ×3, first 2 shown]
	v_mul_u32_u24_e32 v2, 0x20d, v0
	v_mov_b32_e32 v1, 0
	v_mov_b32_e32 v15, 0
	;; [unrolled: 1-line block ×3, first 2 shown]
	v_add_nc_u32_sdwa v8, s6, v2 dst_sel:DWORD dst_unused:UNUSED_PAD src0_sel:DWORD src1_sel:WORD_1
	v_mov_b32_e32 v9, v1
	s_waitcnt lgkmcnt(0)
	v_cmp_lt_u64_e64 s0, s[14:15], 2
	s_and_b32 vcc_lo, exec_lo, s0
	s_cbranch_vccnz .LBB0_8
; %bb.1:
	s_load_dwordx2 s[0:1], s[4:5], 0x10
	v_mov_b32_e32 v15, 0
	v_mov_b32_e32 v16, 0
	s_add_u32 s2, s18, 8
	s_addc_u32 s3, s19, 0
	v_mov_b32_e32 v4, v15
	s_add_u32 s6, s16, 8
	v_mov_b32_e32 v5, v16
	s_addc_u32 s7, s17, 0
	s_mov_b64 s[22:23], 1
	s_waitcnt lgkmcnt(0)
	s_add_u32 s20, s0, 8
	s_addc_u32 s21, s1, 0
.LBB0_2:                                ; =>This Inner Loop Header: Depth=1
	s_load_dwordx2 s[24:25], s[20:21], 0x0
                                        ; implicit-def: $vgpr6_vgpr7
	s_mov_b32 s0, exec_lo
	s_waitcnt lgkmcnt(0)
	v_or_b32_e32 v2, s25, v9
	v_cmpx_ne_u64_e32 0, v[1:2]
	s_xor_b32 s1, exec_lo, s0
	s_cbranch_execz .LBB0_4
; %bb.3:                                ;   in Loop: Header=BB0_2 Depth=1
	v_cvt_f32_u32_e32 v2, s24
	v_cvt_f32_u32_e32 v3, s25
	s_sub_u32 s0, 0, s24
	s_subb_u32 s26, 0, s25
	v_fmac_f32_e32 v2, 0x4f800000, v3
	v_rcp_f32_e32 v2, v2
	v_mul_f32_e32 v2, 0x5f7ffffc, v2
	v_mul_f32_e32 v3, 0x2f800000, v2
	v_trunc_f32_e32 v3, v3
	v_fmac_f32_e32 v2, 0xcf800000, v3
	v_cvt_u32_f32_e32 v3, v3
	v_cvt_u32_f32_e32 v2, v2
	v_mul_lo_u32 v6, s0, v3
	v_mul_hi_u32 v7, s0, v2
	v_mul_lo_u32 v10, s26, v2
	v_add_nc_u32_e32 v6, v7, v6
	v_mul_lo_u32 v7, s0, v2
	v_add_nc_u32_e32 v6, v6, v10
	v_mul_hi_u32 v10, v2, v7
	v_mul_lo_u32 v11, v2, v6
	v_mul_hi_u32 v12, v2, v6
	v_mul_hi_u32 v13, v3, v7
	v_mul_lo_u32 v7, v3, v7
	v_mul_hi_u32 v14, v3, v6
	v_mul_lo_u32 v6, v3, v6
	v_add_co_u32 v10, vcc_lo, v10, v11
	v_add_co_ci_u32_e32 v11, vcc_lo, 0, v12, vcc_lo
	v_add_co_u32 v7, vcc_lo, v10, v7
	v_add_co_ci_u32_e32 v7, vcc_lo, v11, v13, vcc_lo
	v_add_co_ci_u32_e32 v10, vcc_lo, 0, v14, vcc_lo
	v_add_co_u32 v6, vcc_lo, v7, v6
	v_add_co_ci_u32_e32 v7, vcc_lo, 0, v10, vcc_lo
	v_add_co_u32 v2, vcc_lo, v2, v6
	v_add_co_ci_u32_e32 v3, vcc_lo, v3, v7, vcc_lo
	v_mul_hi_u32 v6, s0, v2
	v_mul_lo_u32 v10, s26, v2
	v_mul_lo_u32 v7, s0, v3
	v_add_nc_u32_e32 v6, v6, v7
	v_mul_lo_u32 v7, s0, v2
	v_add_nc_u32_e32 v6, v6, v10
	v_mul_hi_u32 v10, v2, v7
	v_mul_lo_u32 v11, v2, v6
	v_mul_hi_u32 v12, v2, v6
	v_mul_hi_u32 v13, v3, v7
	v_mul_lo_u32 v7, v3, v7
	v_mul_hi_u32 v14, v3, v6
	v_mul_lo_u32 v6, v3, v6
	v_add_co_u32 v10, vcc_lo, v10, v11
	v_add_co_ci_u32_e32 v11, vcc_lo, 0, v12, vcc_lo
	v_add_co_u32 v7, vcc_lo, v10, v7
	v_add_co_ci_u32_e32 v7, vcc_lo, v11, v13, vcc_lo
	v_add_co_ci_u32_e32 v10, vcc_lo, 0, v14, vcc_lo
	v_add_co_u32 v6, vcc_lo, v7, v6
	v_add_co_ci_u32_e32 v7, vcc_lo, 0, v10, vcc_lo
	v_add_co_u32 v6, vcc_lo, v2, v6
	v_add_co_ci_u32_e32 v10, vcc_lo, v3, v7, vcc_lo
	v_mul_hi_u32 v12, v8, v6
	v_mad_u64_u32 v[6:7], null, v9, v6, 0
	v_mad_u64_u32 v[2:3], null, v8, v10, 0
	;; [unrolled: 1-line block ×3, first 2 shown]
	v_add_co_u32 v2, vcc_lo, v12, v2
	v_add_co_ci_u32_e32 v3, vcc_lo, 0, v3, vcc_lo
	v_add_co_u32 v2, vcc_lo, v2, v6
	v_add_co_ci_u32_e32 v2, vcc_lo, v3, v7, vcc_lo
	v_add_co_ci_u32_e32 v3, vcc_lo, 0, v11, vcc_lo
	v_add_co_u32 v6, vcc_lo, v2, v10
	v_add_co_ci_u32_e32 v7, vcc_lo, 0, v3, vcc_lo
	v_mul_lo_u32 v10, s25, v6
	v_mad_u64_u32 v[2:3], null, s24, v6, 0
	v_mul_lo_u32 v11, s24, v7
	v_sub_co_u32 v2, vcc_lo, v8, v2
	v_add3_u32 v3, v3, v11, v10
	v_sub_nc_u32_e32 v10, v9, v3
	v_subrev_co_ci_u32_e64 v10, s0, s25, v10, vcc_lo
	v_add_co_u32 v11, s0, v6, 2
	v_add_co_ci_u32_e64 v12, s0, 0, v7, s0
	v_sub_co_u32 v13, s0, v2, s24
	v_sub_co_ci_u32_e32 v3, vcc_lo, v9, v3, vcc_lo
	v_subrev_co_ci_u32_e64 v10, s0, 0, v10, s0
	v_cmp_le_u32_e32 vcc_lo, s24, v13
	v_cmp_eq_u32_e64 s0, s25, v3
	v_cndmask_b32_e64 v13, 0, -1, vcc_lo
	v_cmp_le_u32_e32 vcc_lo, s25, v10
	v_cndmask_b32_e64 v14, 0, -1, vcc_lo
	v_cmp_le_u32_e32 vcc_lo, s24, v2
	;; [unrolled: 2-line block ×3, first 2 shown]
	v_cndmask_b32_e64 v17, 0, -1, vcc_lo
	v_cmp_eq_u32_e32 vcc_lo, s25, v10
	v_cndmask_b32_e64 v2, v17, v2, s0
	v_cndmask_b32_e32 v10, v14, v13, vcc_lo
	v_add_co_u32 v13, vcc_lo, v6, 1
	v_add_co_ci_u32_e32 v14, vcc_lo, 0, v7, vcc_lo
	v_cmp_ne_u32_e32 vcc_lo, 0, v10
	v_cndmask_b32_e32 v3, v14, v12, vcc_lo
	v_cndmask_b32_e32 v10, v13, v11, vcc_lo
	v_cmp_ne_u32_e32 vcc_lo, 0, v2
	v_cndmask_b32_e32 v7, v7, v3, vcc_lo
	v_cndmask_b32_e32 v6, v6, v10, vcc_lo
.LBB0_4:                                ;   in Loop: Header=BB0_2 Depth=1
	s_andn2_saveexec_b32 s0, s1
	s_cbranch_execz .LBB0_6
; %bb.5:                                ;   in Loop: Header=BB0_2 Depth=1
	v_cvt_f32_u32_e32 v2, s24
	s_sub_i32 s1, 0, s24
	v_rcp_iflag_f32_e32 v2, v2
	v_mul_f32_e32 v2, 0x4f7ffffe, v2
	v_cvt_u32_f32_e32 v2, v2
	v_mul_lo_u32 v3, s1, v2
	v_mul_hi_u32 v3, v2, v3
	v_add_nc_u32_e32 v2, v2, v3
	v_mul_hi_u32 v2, v8, v2
	v_mul_lo_u32 v3, v2, s24
	v_add_nc_u32_e32 v6, 1, v2
	v_sub_nc_u32_e32 v3, v8, v3
	v_subrev_nc_u32_e32 v7, s24, v3
	v_cmp_le_u32_e32 vcc_lo, s24, v3
	v_cndmask_b32_e32 v3, v3, v7, vcc_lo
	v_cndmask_b32_e32 v2, v2, v6, vcc_lo
	v_mov_b32_e32 v7, v1
	v_cmp_le_u32_e32 vcc_lo, s24, v3
	v_add_nc_u32_e32 v6, 1, v2
	v_cndmask_b32_e32 v6, v2, v6, vcc_lo
.LBB0_6:                                ;   in Loop: Header=BB0_2 Depth=1
	s_or_b32 exec_lo, exec_lo, s0
	v_mul_lo_u32 v10, v7, s24
	v_mul_lo_u32 v11, v6, s25
	s_load_dwordx2 s[0:1], s[6:7], 0x0
	v_mad_u64_u32 v[2:3], null, v6, s24, 0
	s_load_dwordx2 s[24:25], s[2:3], 0x0
	s_add_u32 s22, s22, 1
	s_addc_u32 s23, s23, 0
	s_add_u32 s2, s2, 8
	s_addc_u32 s3, s3, 0
	s_add_u32 s6, s6, 8
	v_add3_u32 v3, v3, v11, v10
	v_sub_co_u32 v2, vcc_lo, v8, v2
	s_addc_u32 s7, s7, 0
	s_add_u32 s20, s20, 8
	v_sub_co_ci_u32_e32 v3, vcc_lo, v9, v3, vcc_lo
	s_addc_u32 s21, s21, 0
	s_waitcnt lgkmcnt(0)
	v_mul_lo_u32 v8, s0, v3
	v_mul_lo_u32 v9, s1, v2
	v_mad_u64_u32 v[15:16], null, s0, v2, v[15:16]
	v_mul_lo_u32 v3, s24, v3
	v_mul_lo_u32 v10, s25, v2
	v_mad_u64_u32 v[4:5], null, s24, v2, v[4:5]
	v_cmp_ge_u64_e64 s0, s[22:23], s[14:15]
	v_add3_u32 v16, v9, v16, v8
	v_add3_u32 v5, v10, v5, v3
	s_and_b32 vcc_lo, exec_lo, s0
	s_cbranch_vccnz .LBB0_9
; %bb.7:                                ;   in Loop: Header=BB0_2 Depth=1
	v_mov_b32_e32 v9, v7
	v_mov_b32_e32 v8, v6
	s_branch .LBB0_2
.LBB0_8:
	v_mov_b32_e32 v4, v15
	v_mov_b32_e32 v6, v8
	;; [unrolled: 1-line block ×4, first 2 shown]
.LBB0_9:
	s_load_dwordx2 s[0:1], s[4:5], 0x28
	v_mul_hi_u32 v2, 0x20c49bb, v0
	s_lshl_b64 s[4:5], s[14:15], 3
                                        ; implicit-def: $sgpr6
                                        ; implicit-def: $vgpr59
	s_add_u32 s2, s18, s4
	s_addc_u32 s3, s19, s5
	s_waitcnt lgkmcnt(0)
	v_cmp_gt_u64_e32 vcc_lo, s[0:1], v[6:7]
	v_cmp_le_u64_e64 s0, s[0:1], v[6:7]
	s_and_saveexec_b32 s1, s0
	s_xor_b32 s0, exec_lo, s1
; %bb.10:
	v_mul_u32_u24_e32 v1, 0x7d, v2
	s_mov_b32 s6, 0
                                        ; implicit-def: $vgpr2
                                        ; implicit-def: $vgpr15_vgpr16
	v_sub_nc_u32_e32 v59, v0, v1
                                        ; implicit-def: $vgpr0
; %bb.11:
	s_or_saveexec_b32 s1, s0
	s_load_dwordx2 s[2:3], s[2:3], 0x0
	v_mov_b32_e32 v8, s6
                                        ; implicit-def: $vgpr1
                                        ; implicit-def: $vgpr58
                                        ; implicit-def: $vgpr54
                                        ; implicit-def: $vgpr56
                                        ; implicit-def: $vgpr52
                                        ; implicit-def: $vgpr3
                                        ; implicit-def: $vgpr46
                                        ; implicit-def: $vgpr44
                                        ; implicit-def: $vgpr50
                                        ; implicit-def: $vgpr48
                                        ; implicit-def: $vgpr12
                                        ; implicit-def: $vgpr36
                                        ; implicit-def: $vgpr38
                                        ; implicit-def: $vgpr40
                                        ; implicit-def: $vgpr42
                                        ; implicit-def: $vgpr14
                                        ; implicit-def: $vgpr34
                                        ; implicit-def: $vgpr32
                                        ; implicit-def: $vgpr30
                                        ; implicit-def: $vgpr10
	s_xor_b32 exec_lo, exec_lo, s1
	s_cbranch_execz .LBB0_15
; %bb.12:
	s_add_u32 s4, s16, s4
	s_addc_u32 s5, s17, s5
                                        ; implicit-def: $vgpr29
                                        ; implicit-def: $vgpr31
                                        ; implicit-def: $vgpr33
                                        ; implicit-def: $vgpr13
	s_load_dwordx2 s[4:5], s[4:5], 0x0
	s_waitcnt lgkmcnt(0)
	v_mul_lo_u32 v1, s5, v6
	v_mul_lo_u32 v3, s4, v7
	v_mad_u64_u32 v[8:9], null, s4, v6, 0
	s_mov_b32 s4, exec_lo
	v_add3_u32 v9, v9, v3, v1
	v_mul_u32_u24_e32 v3, 0x7d, v2
	v_lshlrev_b64 v[1:2], 3, v[8:9]
	v_lshlrev_b64 v[8:9], 3, v[15:16]
	v_sub_nc_u32_e32 v59, v0, v3
	v_add_co_u32 v0, s0, s8, v1
	v_add_co_ci_u32_e64 v1, s0, s9, v2, s0
	v_lshlrev_b32_e32 v2, 3, v59
	v_add_co_u32 v0, s0, v0, v8
	v_add_co_ci_u32_e64 v1, s0, v1, v9, s0
	v_add_co_u32 v8, s0, v0, v2
	v_add_co_ci_u32_e64 v9, s0, 0, v1, s0
	s_clause 0x1
	global_load_dwordx2 v[0:1], v[8:9], off
	global_load_dwordx2 v[2:3], v[8:9], off offset:1000
	v_add_co_u32 v14, s0, 0x800, v8
	v_add_co_ci_u32_e64 v15, s0, 0, v9, s0
	v_add_co_u32 v16, s0, 0x1800, v8
	v_add_co_ci_u32_e64 v17, s0, 0, v9, s0
	;; [unrolled: 2-line block ×7, first 2 shown]
	s_clause 0xc
	global_load_dwordx2 v[51:52], v[20:21], off offset:512
	global_load_dwordx2 v[53:54], v[16:17], off offset:256
	;; [unrolled: 1-line block ×13, first 2 shown]
                                        ; implicit-def: $vgpr9
	v_cmpx_gt_u32_e32 25, v59
; %bb.13:
	s_clause 0x4
	global_load_dwordx2 v[9:10], v[14:15], off offset:952
	global_load_dwordx2 v[29:30], v[16:17], off offset:56
	;; [unrolled: 1-line block ×5, first 2 shown]
; %bb.14:
	s_or_b32 exec_lo, exec_lo, s4
	v_mov_b32_e32 v8, v59
.LBB0_15:
	s_or_b32 exec_lo, exec_lo, s1
	s_waitcnt vmcnt(4)
	v_add_f32_e32 v15, v53, v55
	v_sub_f32_e32 v17, v58, v52
	v_add_f32_e32 v21, v57, v51
	v_add_f32_e32 v16, v0, v57
	v_sub_f32_e32 v18, v54, v56
	v_fma_f32 v15, -0.5, v15, v0
	v_sub_f32_e32 v19, v57, v53
	v_sub_f32_e32 v20, v51, v55
	v_fmac_f32_e32 v0, -0.5, v21
	v_sub_f32_e32 v22, v53, v57
	v_fmamk_f32 v24, v17, 0xbf737871, v15
	v_fmac_f32_e32 v15, 0x3f737871, v17
	v_sub_f32_e32 v23, v55, v51
	s_waitcnt vmcnt(2)
	v_add_f32_e32 v21, v43, v49
	v_add_f32_e32 v19, v19, v20
	v_fmac_f32_e32 v24, 0xbf167918, v18
	v_fmac_f32_e32 v15, 0x3f167918, v18
	v_fmamk_f32 v20, v18, 0x3f737871, v0
	v_fmac_f32_e32 v0, 0xbf737871, v18
	v_sub_f32_e32 v25, v46, v48
	v_fma_f32 v21, -0.5, v21, v2
	v_fmac_f32_e32 v24, 0x3e9e377a, v19
	v_fmac_f32_e32 v15, 0x3e9e377a, v19
	;; [unrolled: 1-line block ×3, first 2 shown]
	v_add_f32_e32 v19, v22, v23
	v_sub_f32_e32 v23, v45, v43
	v_sub_f32_e32 v26, v47, v49
	v_fmac_f32_e32 v0, 0x3f167918, v17
	v_add_f32_e32 v17, v45, v47
	v_fmamk_f32 v18, v25, 0xbf737871, v21
	v_sub_f32_e32 v22, v44, v50
	v_add_f32_e32 v23, v23, v26
	v_fmac_f32_e32 v21, 0x3f737871, v25
	v_add_f32_e32 v26, v2, v45
	v_fmac_f32_e32 v2, -0.5, v17
	v_fmac_f32_e32 v20, 0x3e9e377a, v19
	v_fmac_f32_e32 v18, 0xbf167918, v22
	;; [unrolled: 1-line block ×4, first 2 shown]
	v_fmamk_f32 v19, v22, 0x3f737871, v2
	v_sub_f32_e32 v27, v43, v45
	v_sub_f32_e32 v28, v49, v47
	v_fmac_f32_e32 v2, 0xbf737871, v22
	v_fmac_f32_e32 v18, 0x3e9e377a, v23
	s_waitcnt vmcnt(1)
	v_add_f32_e32 v17, v37, v39
	v_fmac_f32_e32 v21, 0x3e9e377a, v23
	v_fmac_f32_e32 v19, 0xbf167918, v25
	v_add_f32_e32 v23, v27, v28
	v_fmac_f32_e32 v2, 0x3f167918, v25
	s_waitcnt vmcnt(0)
	v_add_f32_e32 v27, v35, v41
	v_fma_f32 v17, -0.5, v17, v11
	v_sub_f32_e32 v22, v36, v42
	v_sub_f32_e32 v28, v38, v40
	v_fmac_f32_e32 v19, 0x3e9e377a, v23
	v_fmac_f32_e32 v2, 0x3e9e377a, v23
	v_add_f32_e32 v23, v11, v35
	v_fmac_f32_e32 v11, -0.5, v27
	v_fmamk_f32 v25, v22, 0xbf737871, v17
	v_sub_f32_e32 v27, v35, v37
	v_sub_f32_e32 v60, v41, v39
	v_fmac_f32_e32 v17, 0x3f737871, v22
	v_fmamk_f32 v65, v28, 0x3f737871, v11
	v_fmac_f32_e32 v11, 0xbf737871, v28
	v_fmac_f32_e32 v25, 0xbf167918, v28
	v_sub_f32_e32 v61, v37, v35
	v_sub_f32_e32 v62, v39, v41
	v_add_f32_e32 v27, v27, v60
	v_fmac_f32_e32 v17, 0x3f167918, v28
	v_fmac_f32_e32 v65, 0xbf167918, v22
	;; [unrolled: 1-line block ×3, first 2 shown]
	v_add_f32_e32 v22, v33, v31
	v_add_f32_e32 v28, v61, v62
	v_fmac_f32_e32 v25, 0x3e9e377a, v27
	v_fmac_f32_e32 v17, 0x3e9e377a, v27
	v_sub_f32_e32 v27, v13, v33
	v_fma_f32 v62, -0.5, v22, v9
	v_sub_f32_e32 v22, v29, v31
	v_add_f32_e32 v60, v13, v29
	v_fmac_f32_e32 v65, 0x3e9e377a, v28
	v_fmac_f32_e32 v11, 0x3e9e377a, v28
	v_sub_f32_e32 v28, v30, v14
	v_sub_f32_e32 v61, v31, v29
	;; [unrolled: 1-line block ×3, first 2 shown]
	v_add_f32_e32 v22, v27, v22
	v_sub_f32_e32 v27, v32, v34
	v_add_f32_e32 v66, v29, v9
	v_fmac_f32_e32 v9, -0.5, v60
	v_add_f32_e32 v16, v16, v53
	v_add_f32_e32 v26, v26, v43
	v_fmamk_f32 v63, v28, 0xbf737871, v62
	v_fmac_f32_e32 v62, 0x3f737871, v28
	v_add_f32_e32 v60, v64, v61
	v_add_f32_e32 v61, v31, v66
	v_fmamk_f32 v64, v27, 0x3f737871, v9
	v_add_f32_e32 v16, v16, v55
	v_fmac_f32_e32 v9, 0xbf737871, v27
	v_add_f32_e32 v23, v23, v37
	v_add_f32_e32 v26, v26, v49
	v_mad_u32_u24 v66, v59, 20, 0
	v_fmac_f32_e32 v63, 0xbf167918, v27
	v_fmac_f32_e32 v62, 0x3f167918, v27
	v_add_f32_e32 v61, v33, v61
	v_add_f32_e32 v16, v16, v51
	v_fmac_f32_e32 v64, 0xbf167918, v28
	v_fmac_f32_e32 v9, 0x3f167918, v28
	v_add_f32_e32 v23, v23, v39
	v_add_f32_e32 v26, v26, v47
	v_add_nc_u32_e32 v67, 0x9c4, v66
	v_add_nc_u32_e32 v68, 0x9cc, v66
	v_add_f32_e32 v61, v13, v61
	v_fmac_f32_e32 v63, 0x3e9e377a, v22
	v_fmac_f32_e32 v62, 0x3e9e377a, v22
	;; [unrolled: 1-line block ×4, first 2 shown]
	ds_write2_b32 v66, v16, v24 offset1:1
	ds_write2_b32 v66, v20, v0 offset0:2 offset1:3
	ds_write_b32 v66, v15 offset:16
	ds_write2_b32 v67, v26, v18 offset1:1
	ds_write2_b32 v68, v19, v2 offset1:1
	v_add_nc_u32_e32 v69, 0x1388, v66
	v_add_nc_u32_e32 v70, 0x1390, v66
	v_cmp_gt_u32_e64 s0, 25, v59
	v_add_nc_u32_e32 v0, 0x1d4c, v66
	v_add_nc_u32_e32 v2, 0x1d54, v66
	v_add_f32_e32 v23, v23, v41
	ds_write_b32 v66, v21 offset:2516
	ds_write2_b32 v69, v23, v25 offset1:1
	ds_write2_b32 v70, v65, v11 offset1:1
	ds_write_b32 v66, v17 offset:5016
	s_and_saveexec_b32 s1, s0
	s_cbranch_execz .LBB0_17
; %bb.16:
	ds_write2_b32 v0, v61, v63 offset1:1
	ds_write2_b32 v2, v64, v9 offset1:1
	ds_write_b32 v66, v62 offset:7516
.LBB0_17:
	s_or_b32 exec_lo, exec_lo, s1
	v_lshlrev_b32_e32 v11, 4, v59
	s_waitcnt lgkmcnt(0)
	s_barrier
	buffer_gl0_inv
	v_sub_nc_u32_e32 v60, v66, v11
	v_add_nc_u32_e32 v11, 0x300, v60
	v_add_nc_u32_e32 v19, 0xc00, v60
	;; [unrolled: 1-line block ×6, first 2 shown]
	ds_read2_b32 v[15:16], v60 offset1:125
	ds_read2_b32 v[17:18], v11 offset0:58 offset1:208
	ds_read2_b32 v[21:22], v19 offset0:32 offset1:157
	;; [unrolled: 1-line block ×6, first 2 shown]
	ds_read_b32 v65, v60 offset:7400
	s_and_saveexec_b32 s1, s0
	s_cbranch_execz .LBB0_19
; %bb.18:
	ds_read_b32 v61, v60 offset:1500
	ds_read_b32 v63, v60 offset:3100
	;; [unrolled: 1-line block ×5, first 2 shown]
.LBB0_19:
	s_or_b32 exec_lo, exec_lo, s1
	v_add_f32_e32 v71, v1, v58
	v_add_f32_e32 v11, v54, v56
	v_sub_f32_e32 v51, v57, v51
	v_sub_f32_e32 v53, v53, v55
	;; [unrolled: 1-line block ×4, first 2 shown]
	v_add_f32_e32 v71, v71, v54
	v_fma_f32 v11, -0.5, v11, v1
	v_add_f32_e32 v72, v58, v52
	v_sub_f32_e32 v54, v54, v58
	v_add_f32_e32 v55, v55, v57
	v_add_f32_e32 v57, v71, v56
	v_fmamk_f32 v58, v51, 0x3f737871, v11
	v_fmac_f32_e32 v1, -0.5, v72
	v_fmac_f32_e32 v11, 0xbf737871, v51
	v_sub_f32_e32 v56, v56, v52
	v_add_f32_e32 v52, v57, v52
	v_add_f32_e32 v57, v3, v46
	v_fmac_f32_e32 v58, 0x3f167918, v53
	v_fmamk_f32 v71, v53, 0xbf737871, v1
	v_fmac_f32_e32 v11, 0xbf167918, v53
	v_add_f32_e32 v72, v44, v50
	v_fmac_f32_e32 v1, 0x3f737871, v53
	v_add_f32_e32 v53, v57, v44
	v_add_f32_e32 v54, v54, v56
	v_sub_f32_e32 v45, v45, v47
	v_fma_f32 v56, -0.5, v72, v3
	v_fmac_f32_e32 v58, 0x3e9e377a, v55
	v_add_f32_e32 v47, v53, v50
	v_add_f32_e32 v53, v46, v48
	v_fmac_f32_e32 v71, 0x3f167918, v51
	v_fmac_f32_e32 v11, 0x3e9e377a, v55
	;; [unrolled: 1-line block ×3, first 2 shown]
	v_fmamk_f32 v51, v45, 0x3f737871, v56
	v_sub_f32_e32 v43, v43, v49
	v_sub_f32_e32 v49, v46, v44
	;; [unrolled: 1-line block ×3, first 2 shown]
	v_fmac_f32_e32 v3, -0.5, v53
	v_add_f32_e32 v53, v47, v48
	v_fmac_f32_e32 v56, 0xbf737871, v45
	v_sub_f32_e32 v44, v44, v46
	v_sub_f32_e32 v46, v50, v48
	v_add_f32_e32 v48, v38, v40
	v_fmac_f32_e32 v51, 0x3f167918, v43
	v_add_f32_e32 v47, v49, v55
	v_fmamk_f32 v49, v43, 0xbf737871, v3
	v_fmac_f32_e32 v56, 0xbf167918, v43
	v_fmac_f32_e32 v3, 0x3f737871, v43
	v_add_f32_e32 v43, v12, v36
	v_fma_f32 v50, -0.5, v48, v12
	v_sub_f32_e32 v35, v35, v41
	v_fmac_f32_e32 v49, 0x3f167918, v45
	v_add_f32_e32 v44, v44, v46
	v_fmac_f32_e32 v3, 0xbf167918, v45
	v_add_f32_e32 v41, v43, v38
	v_fmamk_f32 v43, v35, 0x3f737871, v50
	v_sub_f32_e32 v37, v37, v39
	v_sub_f32_e32 v39, v36, v38
	;; [unrolled: 1-line block ×3, first 2 shown]
	v_fmac_f32_e32 v50, 0xbf737871, v35
	v_add_f32_e32 v46, v36, v42
	v_fmac_f32_e32 v43, 0x3f167918, v37
	v_sub_f32_e32 v36, v38, v36
	v_add_f32_e32 v39, v39, v45
	v_fmac_f32_e32 v50, 0xbf167918, v37
	v_fmac_f32_e32 v12, -0.5, v46
	v_sub_f32_e32 v38, v40, v42
	v_fmac_f32_e32 v49, 0x3e9e377a, v44
	v_fmac_f32_e32 v3, 0x3e9e377a, v44
	;; [unrolled: 1-line block ×4, first 2 shown]
	v_fmamk_f32 v44, v37, 0xbf737871, v12
	v_add_f32_e32 v39, v34, v32
	v_fmac_f32_e32 v12, 0x3f737871, v37
	v_add_f32_e32 v37, v30, v10
	v_sub_f32_e32 v13, v29, v13
	v_add_f32_e32 v29, v36, v38
	v_add_f32_e32 v36, v14, v30
	v_fma_f32 v46, -0.5, v39, v10
	v_fmac_f32_e32 v44, 0x3f167918, v35
	v_fmac_f32_e32 v12, 0xbf167918, v35
	v_add_f32_e32 v35, v32, v37
	v_sub_f32_e32 v31, v31, v33
	v_fmac_f32_e32 v10, -0.5, v36
	v_fmac_f32_e32 v51, 0x3e9e377a, v47
	v_fmac_f32_e32 v56, 0x3e9e377a, v47
	v_fmamk_f32 v47, v13, 0x3f737871, v46
	v_fmac_f32_e32 v44, 0x3e9e377a, v29
	v_fmac_f32_e32 v12, 0x3e9e377a, v29
	v_add_f32_e32 v29, v34, v35
	v_sub_f32_e32 v33, v30, v32
	v_sub_f32_e32 v35, v14, v34
	v_fmac_f32_e32 v46, 0xbf737871, v13
	v_fmamk_f32 v48, v31, 0xbf737871, v10
	v_sub_f32_e32 v30, v32, v30
	v_sub_f32_e32 v32, v34, v14
	v_fmac_f32_e32 v10, 0x3f737871, v31
	v_fmac_f32_e32 v47, 0x3f167918, v31
	v_add_f32_e32 v33, v35, v33
	v_fmac_f32_e32 v46, 0xbf167918, v31
	v_fmac_f32_e32 v48, 0x3f167918, v13
	v_add_f32_e32 v30, v32, v30
	v_fmac_f32_e32 v10, 0xbf167918, v13
	v_add_f32_e32 v41, v41, v40
	v_add_f32_e32 v39, v14, v29
	v_fmac_f32_e32 v47, 0x3e9e377a, v33
	v_fmac_f32_e32 v46, 0x3e9e377a, v33
	;; [unrolled: 1-line block ×6, first 2 shown]
	v_add_f32_e32 v41, v41, v42
	s_waitcnt lgkmcnt(0)
	s_barrier
	buffer_gl0_inv
	ds_write2_b32 v66, v52, v58 offset1:1
	ds_write2_b32 v66, v71, v1 offset0:2 offset1:3
	ds_write_b32 v66, v11 offset:16
	ds_write2_b32 v67, v53, v51 offset1:1
	ds_write2_b32 v68, v49, v3 offset1:1
	ds_write_b32 v66, v56 offset:2516
	ds_write2_b32 v69, v41, v43 offset1:1
	ds_write2_b32 v70, v44, v12 offset1:1
	ds_write_b32 v66, v50 offset:5016
	s_and_saveexec_b32 s1, s0
	s_cbranch_execz .LBB0_21
; %bb.20:
	ds_write2_b32 v0, v39, v47 offset1:1
	ds_write2_b32 v2, v48, v10 offset1:1
	ds_write_b32 v66, v46 offset:7516
.LBB0_21:
	s_or_b32 exec_lo, exec_lo, s1
	v_add_nc_u32_e32 v0, 0x300, v60
	s_waitcnt lgkmcnt(0)
	s_barrier
	buffer_gl0_inv
	ds_read2_b32 v[13:14], v60 offset1:125
	ds_read2_b32 v[11:12], v0 offset0:58 offset1:208
	v_add_nc_u32_e32 v0, 0xc00, v60
	v_add_nc_u32_e32 v1, 0x1000, v60
	;; [unrolled: 1-line block ×5, first 2 shown]
	ds_read2_b32 v[31:32], v0 offset0:32 offset1:157
	ds_read2_b32 v[37:38], v1 offset0:26 offset1:176
	;; [unrolled: 1-line block ×5, first 2 shown]
	ds_read_b32 v49, v60 offset:7400
	s_and_saveexec_b32 s1, s0
	s_cbranch_execz .LBB0_23
; %bb.22:
	ds_read_b32 v39, v60 offset:1500
	ds_read_b32 v47, v60 offset:3100
	;; [unrolled: 1-line block ×5, first 2 shown]
.LBB0_23:
	s_or_b32 exec_lo, exec_lo, s1
	v_add_nc_u32_e32 v40, 0x177, v59
	v_mov_b32_e32 v0, 0xcccd
	v_and_b32_e32 v42, 0xff, v59
	v_add_nc_u32_e32 v41, 0xfa, v59
	v_mov_b32_e32 v51, 5
	v_mul_u32_u24_sdwa v1, v40, v0 dst_sel:DWORD dst_unused:UNUSED_PAD src0_sel:WORD_0 src1_sel:DWORD
	v_mul_u32_u24_sdwa v0, v41, v0 dst_sel:DWORD dst_unused:UNUSED_PAD src0_sel:WORD_0 src1_sel:DWORD
	v_lshrrev_b32_e32 v50, 18, v1
	v_mul_lo_u16 v1, 0xcd, v42
	v_lshrrev_b32_e32 v58, 18, v0
	v_mul_lo_u16 v2, v50, 5
	v_lshrrev_b16 v52, 10, v1
	v_mul_lo_u16 v43, v58, 5
	v_mul_u32_u24_e32 v58, 0x64, v58
	v_mul_lo_u16 v50, v50, 25
	v_sub_nc_u16 v45, v40, v2
	v_mul_lo_u16 v1, v52, 5
	v_sub_nc_u16 v66, v41, v43
	v_add_nc_u16 v43, v59, 0x7d
	v_lshlrev_b32_sdwa v2, v51, v45 dst_sel:DWORD dst_unused:UNUSED_PAD src0_sel:DWORD src1_sel:WORD_0
	v_sub_nc_u16 v53, v59, v1
	v_lshlrev_b32_sdwa v67, v51, v66 dst_sel:DWORD dst_unused:UNUSED_PAD src0_sel:DWORD src1_sel:WORD_0
	s_clause 0x1
	global_load_dwordx4 v[54:57], v2, s[12:13]
	global_load_dwordx4 v[68:71], v2, s[12:13] offset:16
	v_lshlrev_b32_sdwa v44, v51, v53 dst_sel:DWORD dst_unused:UNUSED_PAD src0_sel:DWORD src1_sel:BYTE_0
	s_clause 0x3
	global_load_dwordx4 v[81:84], v67, s[12:13]
	global_load_dwordx4 v[85:88], v67, s[12:13] offset:16
	global_load_dwordx4 v[0:3], v44, s[12:13]
	global_load_dwordx4 v[77:80], v44, s[12:13] offset:16
	v_and_b32_e32 v44, 0xff, v43
	v_mul_lo_u16 v72, 0xcd, v44
	v_lshrrev_b16 v72, 10, v72
	v_mul_lo_u16 v67, v72, 5
	v_sub_nc_u16 v73, v43, v67
	v_mov_b32_e32 v67, 2
	v_lshlrev_b32_sdwa v51, v51, v73 dst_sel:DWORD dst_unused:UNUSED_PAD src0_sel:DWORD src1_sel:BYTE_0
	s_clause 0x1
	global_load_dwordx4 v[89:92], v51, s[12:13]
	global_load_dwordx4 v[93:96], v51, s[12:13] offset:16
	v_mov_b32_e32 v51, 0x64
	v_lshlrev_b32_sdwa v66, v67, v66 dst_sel:DWORD dst_unused:UNUSED_PAD src0_sel:DWORD src1_sel:WORD_0
	v_lshlrev_b32_sdwa v73, v67, v73 dst_sel:DWORD dst_unused:UNUSED_PAD src0_sel:DWORD src1_sel:BYTE_0
	s_waitcnt vmcnt(0) lgkmcnt(0)
	s_barrier
	v_mul_u32_u24_sdwa v52, v52, v51 dst_sel:DWORD dst_unused:UNUSED_PAD src0_sel:WORD_0 src1_sel:DWORD
	v_mul_u32_u24_sdwa v72, v72, v51 dst_sel:DWORD dst_unused:UNUSED_PAD src0_sel:WORD_0 src1_sel:DWORD
	v_lshlrev_b32_sdwa v51, v67, v53 dst_sel:DWORD dst_unused:UNUSED_PAD src0_sel:DWORD src1_sel:BYTE_0
	buffer_gl0_inv
	v_add3_u32 v53, 0, v52, v51
	v_add3_u32 v51, 0, v58, v66
	;; [unrolled: 1-line block ×3, first 2 shown]
	v_mul_f32_e32 v58, v47, v55
	v_mul_f32_e32 v73, v63, v55
	;; [unrolled: 1-line block ×11, first 2 shown]
	v_fmac_f32_e32 v58, v63, v54
	v_mul_f32_e32 v3, v21, v3
	v_fma_f32 v54, v47, v54, -v73
	v_mul_f32_e32 v75, v38, v78
	v_fmac_f32_e32 v55, v64, v56
	v_mul_f32_e32 v64, v28, v78
	v_fma_f32 v56, v48, v56, -v74
	v_mul_f32_e32 v76, v29, v80
	v_mul_f32_e32 v47, v37, v84
	;; [unrolled: 1-line block ×3, first 2 shown]
	v_fmac_f32_e32 v57, v9, v68
	v_fma_f32 v10, v10, v68, -v69
	v_mul_f32_e32 v68, v26, v82
	v_mul_f32_e32 v63, v49, v88
	v_fmac_f32_e32 v66, v62, v70
	v_mul_f32_e32 v82, v65, v88
	v_mul_f32_e32 v62, v34, v86
	;; [unrolled: 1-line block ×4, first 2 shown]
	v_fmac_f32_e32 v71, v18, v0
	v_fma_f32 v73, v12, v0, -v1
	v_fmac_f32_e32 v72, v21, v2
	v_fma_f32 v74, v31, v2, -v3
	;; [unrolled: 2-line block ×3, first 2 shown]
	v_fmac_f32_e32 v76, v19, v79
	v_fmac_f32_e32 v47, v27, v83
	;; [unrolled: 1-line block ×3, first 2 shown]
	v_fma_f32 v26, v36, v81, -v68
	v_fmac_f32_e32 v63, v65, v87
	v_fma_f32 v27, v49, v87, -v82
	v_fmac_f32_e32 v62, v24, v85
	v_mul_f32_e32 v65, v35, v90
	v_mul_f32_e32 v0, v25, v90
	;; [unrolled: 1-line block ×7, first 2 shown]
	v_fma_f32 v9, v46, v70, -v97
	v_mul_f32_e32 v46, v24, v86
	v_mul_f32_e32 v1, v22, v92
	v_fmac_f32_e32 v65, v25, v89
	v_fma_f32 v25, v35, v89, -v0
	v_fmac_f32_e32 v49, v22, v91
	v_fmac_f32_e32 v64, v23, v93
	v_fma_f32 v31, v33, v93, -v2
	v_fmac_f32_e32 v68, v20, v95
	v_fma_f32 v30, v30, v95, -v3
	v_add_f32_e32 v0, v72, v75
	v_sub_f32_e32 v2, v71, v72
	v_sub_f32_e32 v3, v76, v75
	v_add_f32_e32 v18, v71, v76
	v_sub_f32_e32 v19, v72, v71
	v_sub_f32_e32 v20, v75, v76
	v_add_f32_e32 v22, v47, v62
	v_fma_f32 v70, v29, v79, -v78
	v_fma_f32 v28, v34, v85, -v46
	v_sub_f32_e32 v23, v48, v47
	v_sub_f32_e32 v24, v63, v62
	;; [unrolled: 1-line block ×4, first 2 shown]
	v_fma_f32 v12, v37, v83, -v80
	v_fma_f32 v29, v32, v91, -v1
	v_add_f32_e32 v32, v48, v63
	v_add_f32_e32 v36, v55, v57
	v_sub_f32_e32 v37, v58, v55
	v_sub_f32_e32 v38, v66, v57
	v_add_f32_e32 v46, v58, v66
	v_sub_f32_e32 v77, v55, v58
	v_sub_f32_e32 v78, v57, v66
	;; [unrolled: 1-line block ×3, first 2 shown]
	v_add_f32_e32 v84, v15, v71
	v_add_f32_e32 v2, v2, v3
	;; [unrolled: 1-line block ×3, first 2 shown]
	v_fma_f32 v20, -0.5, v22, v17
	v_add_f32_e32 v22, v49, v64
	v_fma_f32 v0, -0.5, v0, v15
	v_fma_f32 v15, -0.5, v18, v15
	v_sub_f32_e32 v1, v73, v70
	v_add_f32_e32 v19, v23, v24
	v_add_f32_e32 v23, v33, v34
	;; [unrolled: 1-line block ×5, first 2 shown]
	v_sub_f32_e32 v82, v54, v9
	v_sub_f32_e32 v83, v56, v10
	v_fmac_f32_e32 v17, -0.5, v32
	v_sub_f32_e32 v24, v65, v49
	v_add_f32_e32 v32, v37, v38
	v_sub_f32_e32 v33, v68, v64
	v_fma_f32 v36, -0.5, v36, v61
	v_fmac_f32_e32 v61, -0.5, v46
	v_sub_f32_e32 v37, v49, v65
	v_sub_f32_e32 v38, v64, v68
	;; [unrolled: 1-line block ×3, first 2 shown]
	v_add_f32_e32 v46, v77, v78
	v_add_f32_e32 v77, v16, v65
	v_sub_f32_e32 v18, v25, v30
	v_fma_f32 v22, -0.5, v22, v16
	v_fmamk_f32 v86, v79, 0x3f737871, v15
	v_fmac_f32_e32 v15, 0xbf737871, v79
	v_sub_f32_e32 v78, v29, v31
	v_fmac_f32_e32 v16, -0.5, v34
	v_fmamk_f32 v85, v1, 0xbf737871, v0
	v_fmac_f32_e32 v0, 0x3f737871, v1
	v_sub_f32_e32 v80, v26, v27
	v_add_f32_e32 v84, v84, v72
	v_add_f32_e32 v35, v35, v55
	;; [unrolled: 1-line block ×4, first 2 shown]
	v_fmamk_f32 v37, v82, 0xbf737871, v36
	v_fmac_f32_e32 v36, 0x3f737871, v82
	v_fmamk_f32 v38, v83, 0x3f737871, v61
	v_fmac_f32_e32 v61, 0xbf737871, v83
	;; [unrolled: 2-line block ×3, first 2 shown]
	v_add_f32_e32 v34, v77, v49
	v_fmac_f32_e32 v86, 0xbf167918, v1
	v_fmac_f32_e32 v15, 0x3f167918, v1
	v_fmamk_f32 v1, v18, 0xbf737871, v22
	v_fmac_f32_e32 v85, 0xbf167918, v79
	v_fmac_f32_e32 v0, 0x3f167918, v79
	v_fmamk_f32 v79, v78, 0x3f737871, v16
	v_fmac_f32_e32 v16, 0xbf737871, v78
	v_add_f32_e32 v21, v21, v47
	v_fmamk_f32 v87, v80, 0xbf737871, v20
	v_fmac_f32_e32 v20, 0x3f737871, v80
	v_add_f32_e32 v77, v84, v75
	v_add_f32_e32 v35, v35, v57
	v_fmac_f32_e32 v37, 0xbf167918, v83
	v_fmac_f32_e32 v36, 0x3f167918, v83
	;; [unrolled: 1-line block ×7, first 2 shown]
	v_add_f32_e32 v80, v34, v64
	v_fmac_f32_e32 v1, 0xbf167918, v78
	v_fmac_f32_e32 v79, 0xbf167918, v18
	;; [unrolled: 1-line block ×3, first 2 shown]
	v_add_f32_e32 v21, v21, v62
	v_fmac_f32_e32 v87, 0xbf167918, v81
	v_fmac_f32_e32 v20, 0x3f167918, v81
	v_add_f32_e32 v77, v77, v76
	v_add_f32_e32 v34, v35, v66
	v_fmac_f32_e32 v85, 0x3e9e377a, v2
	v_fmac_f32_e32 v22, 0x3f167918, v78
	;; [unrolled: 1-line block ×9, first 2 shown]
	v_add_f32_e32 v2, v80, v68
	v_fmac_f32_e32 v1, 0x3e9e377a, v24
	v_fmac_f32_e32 v79, 0x3e9e377a, v33
	;; [unrolled: 1-line block ×3, first 2 shown]
	v_add_f32_e32 v21, v21, v63
	v_fmac_f32_e32 v87, 0x3e9e377a, v19
	v_fmac_f32_e32 v20, 0x3e9e377a, v19
	;; [unrolled: 1-line block ×5, first 2 shown]
	ds_write2_b32 v53, v77, v85 offset1:5
	ds_write2_b32 v53, v86, v15 offset0:10 offset1:15
	ds_write_b32 v53, v0 offset:80
	ds_write2_b32 v52, v2, v1 offset1:5
	ds_write2_b32 v52, v79, v16 offset0:10 offset1:15
	ds_write_b32 v52, v22 offset:80
	;; [unrolled: 3-line block ×3, first 2 shown]
	s_and_saveexec_b32 s1, s0
	s_cbranch_execz .LBB0_25
; %bb.24:
	v_lshlrev_b32_sdwa v0, v67, v45 dst_sel:DWORD dst_unused:UNUSED_PAD src0_sel:DWORD src1_sel:WORD_0
	v_lshlrev_b32_sdwa v1, v67, v50 dst_sel:DWORD dst_unused:UNUSED_PAD src0_sel:DWORD src1_sel:WORD_0
	v_add3_u32 v0, 0, v0, v1
	ds_write2_b32 v0, v34, v37 offset1:5
	ds_write2_b32 v0, v38, v61 offset0:10 offset1:15
	ds_write_b32 v0, v36 offset:80
.LBB0_25:
	s_or_b32 exec_lo, exec_lo, s1
	v_add_nc_u32_e32 v15, 0xc00, v60
	v_add_nc_u32_e32 v0, 0x300, v60
	;; [unrolled: 1-line block ×6, first 2 shown]
	s_waitcnt lgkmcnt(0)
	s_barrier
	buffer_gl0_inv
	ds_read2_b32 v[2:3], v60 offset1:125
	ds_read2_b32 v[0:1], v0 offset0:58 offset1:208
	ds_read2_b32 v[23:24], v15 offset0:32 offset1:157
	;; [unrolled: 1-line block ×6, first 2 shown]
	ds_read_b32 v46, v60 offset:7400
	v_lshl_add_u32 v33, v59, 2, 0
	s_and_saveexec_b32 s1, s0
	s_cbranch_execz .LBB0_27
; %bb.26:
	ds_read_b32 v37, v60 offset:3100
	ds_read_b32 v38, v60 offset:4700
	;; [unrolled: 1-line block ×5, first 2 shown]
.LBB0_27:
	s_or_b32 exec_lo, exec_lo, s1
	v_add_f32_e32 v35, v13, v73
	v_add_f32_e32 v32, v74, v69
	v_sub_f32_e32 v67, v71, v76
	v_sub_f32_e32 v71, v72, v75
	;; [unrolled: 1-line block ×3, first 2 shown]
	v_add_f32_e32 v35, v35, v74
	v_fma_f32 v32, -0.5, v32, v13
	v_add_f32_e32 v76, v73, v70
	v_sub_f32_e32 v72, v73, v74
	v_sub_f32_e32 v73, v74, v73
	v_add_f32_e32 v35, v35, v69
	v_sub_f32_e32 v69, v69, v70
	v_fmamk_f32 v74, v67, 0x3f737871, v32
	v_fma_f32 v13, -0.5, v76, v13
	v_fmac_f32_e32 v32, 0xbf737871, v67
	v_add_f32_e32 v70, v35, v70
	v_add_f32_e32 v35, v14, v25
	;; [unrolled: 1-line block ×4, first 2 shown]
	v_fmac_f32_e32 v74, 0x3f167918, v71
	v_fmamk_f32 v75, v71, 0xbf737871, v13
	v_add_f32_e32 v35, v35, v29
	v_fmac_f32_e32 v32, 0xbf167918, v71
	v_fmac_f32_e32 v13, 0x3f737871, v71
	v_fma_f32 v71, -0.5, v76, v14
	v_sub_f32_e32 v65, v65, v68
	v_add_f32_e32 v35, v35, v31
	v_add_f32_e32 v68, v25, v30
	v_sub_f32_e32 v49, v49, v64
	v_sub_f32_e32 v64, v25, v29
	;; [unrolled: 1-line block ×4, first 2 shown]
	v_fmac_f32_e32 v74, 0x3e9e377a, v72
	v_fmac_f32_e32 v75, 0x3f167918, v67
	;; [unrolled: 1-line block ×4, first 2 shown]
	v_fmamk_f32 v67, v65, 0x3f737871, v71
	v_sub_f32_e32 v72, v30, v31
	v_fmac_f32_e32 v14, -0.5, v68
	v_add_f32_e32 v68, v35, v30
	v_fmac_f32_e32 v71, 0xbf737871, v65
	v_add_f32_e32 v30, v12, v28
	v_add_f32_e32 v25, v25, v29
	;; [unrolled: 1-line block ×3, first 2 shown]
	v_fmac_f32_e32 v67, 0x3f167918, v49
	v_add_f32_e32 v35, v64, v72
	v_fmamk_f32 v64, v49, 0xbf737871, v14
	v_fmac_f32_e32 v71, 0xbf167918, v49
	v_fmac_f32_e32 v14, 0x3f737871, v49
	v_fma_f32 v30, -0.5, v30, v11
	v_sub_f32_e32 v31, v48, v63
	v_add_f32_e32 v29, v29, v12
	v_fmac_f32_e32 v67, 0x3e9e377a, v35
	v_fmac_f32_e32 v64, 0x3f167918, v65
	;; [unrolled: 1-line block ×4, first 2 shown]
	v_fmamk_f32 v63, v31, 0x3f737871, v30
	v_sub_f32_e32 v35, v47, v62
	v_sub_f32_e32 v47, v26, v12
	;; [unrolled: 1-line block ×3, first 2 shown]
	v_fmac_f32_e32 v30, 0xbf737871, v31
	v_add_f32_e32 v49, v26, v27
	v_add_f32_e32 v29, v29, v28
	v_fmac_f32_e32 v64, 0x3e9e377a, v25
	v_fmac_f32_e32 v63, 0x3f167918, v35
	v_add_f32_e32 v47, v47, v48
	v_fmac_f32_e32 v30, 0xbf167918, v35
	v_fmac_f32_e32 v11, -0.5, v49
	v_fmac_f32_e32 v14, 0x3e9e377a, v25
	v_add_f32_e32 v25, v29, v27
	v_sub_f32_e32 v12, v12, v26
	v_sub_f32_e32 v26, v28, v27
	v_add_f32_e32 v27, v39, v54
	v_fmac_f32_e32 v63, 0x3e9e377a, v47
	v_fmac_f32_e32 v30, 0x3e9e377a, v47
	v_fmamk_f32 v29, v35, 0xbf737871, v11
	v_add_f32_e32 v47, v56, v10
	v_fmac_f32_e32 v11, 0x3f737871, v35
	v_add_f32_e32 v12, v12, v26
	v_add_f32_e32 v26, v27, v56
	;; [unrolled: 1-line block ×3, first 2 shown]
	v_fma_f32 v47, -0.5, v47, v39
	v_sub_f32_e32 v28, v58, v66
	v_fmac_f32_e32 v29, 0x3f167918, v31
	v_fmac_f32_e32 v11, 0xbf167918, v31
	v_sub_f32_e32 v31, v55, v57
	v_fmac_f32_e32 v39, -0.5, v27
	v_fmamk_f32 v48, v28, 0x3f737871, v47
	v_fmac_f32_e32 v29, 0x3e9e377a, v12
	v_fmac_f32_e32 v11, 0x3e9e377a, v12
	v_add_f32_e32 v12, v26, v10
	v_sub_f32_e32 v26, v54, v56
	v_sub_f32_e32 v27, v9, v10
	v_fmac_f32_e32 v47, 0xbf737871, v28
	v_fmamk_f32 v49, v31, 0xbf737871, v39
	v_sub_f32_e32 v35, v56, v54
	v_sub_f32_e32 v10, v10, v9
	v_fmac_f32_e32 v39, 0x3f737871, v31
	v_fmac_f32_e32 v48, 0x3f167918, v31
	v_add_f32_e32 v26, v26, v27
	v_fmac_f32_e32 v47, 0xbf167918, v31
	v_fmac_f32_e32 v49, 0x3f167918, v28
	v_add_f32_e32 v10, v35, v10
	v_fmac_f32_e32 v39, 0xbf167918, v28
	v_add_f32_e32 v69, v73, v69
	v_add_f32_e32 v35, v12, v9
	v_fmac_f32_e32 v48, 0x3e9e377a, v26
	v_fmac_f32_e32 v47, 0x3e9e377a, v26
	;; [unrolled: 1-line block ×6, first 2 shown]
	s_waitcnt lgkmcnt(0)
	s_barrier
	buffer_gl0_inv
	ds_write2_b32 v53, v70, v74 offset1:5
	ds_write2_b32 v53, v75, v13 offset0:10 offset1:15
	ds_write_b32 v53, v32 offset:80
	ds_write2_b32 v52, v68, v67 offset1:5
	ds_write2_b32 v52, v64, v14 offset0:10 offset1:15
	ds_write_b32 v52, v71 offset:80
	ds_write2_b32 v51, v25, v63 offset1:5
	ds_write2_b32 v51, v29, v11 offset0:10 offset1:15
	ds_write_b32 v51, v30 offset:80
	s_and_saveexec_b32 s1, s0
	s_cbranch_execz .LBB0_29
; %bb.28:
	v_mov_b32_e32 v9, 2
	v_lshlrev_b32_sdwa v10, v9, v45 dst_sel:DWORD dst_unused:UNUSED_PAD src0_sel:DWORD src1_sel:WORD_0
	v_lshlrev_b32_sdwa v9, v9, v50 dst_sel:DWORD dst_unused:UNUSED_PAD src0_sel:DWORD src1_sel:WORD_0
	v_add3_u32 v9, 0, v10, v9
	ds_write2_b32 v9, v35, v48 offset1:5
	ds_write2_b32 v9, v49, v39 offset0:10 offset1:15
	ds_write_b32 v9, v47 offset:80
.LBB0_29:
	s_or_b32 exec_lo, exec_lo, s1
	v_add_nc_u32_e32 v13, 0xc00, v60
	v_add_nc_u32_e32 v9, 0x300, v60
	;; [unrolled: 1-line block ×6, first 2 shown]
	s_waitcnt lgkmcnt(0)
	s_barrier
	buffer_gl0_inv
	ds_read2_b32 v[11:12], v60 offset1:125
	ds_read2_b32 v[9:10], v9 offset0:58 offset1:208
	ds_read2_b32 v[31:32], v13 offset0:32 offset1:157
	;; [unrolled: 1-line block ×6, first 2 shown]
	ds_read_b32 v45, v60 offset:7400
	s_and_saveexec_b32 s1, s0
	s_cbranch_execz .LBB0_31
; %bb.30:
	ds_read_b32 v48, v60 offset:3100
	ds_read_b32 v49, v60 offset:4700
	;; [unrolled: 1-line block ×5, first 2 shown]
.LBB0_31:
	s_or_b32 exec_lo, exec_lo, s1
	v_mul_lo_u16 v42, v42, 41
	v_mul_lo_u16 v44, v44, 41
	v_mov_b32_e32 v51, 5
	v_lshrrev_b16 v42, 10, v42
	v_lshrrev_b16 v44, 10, v44
	v_mul_lo_u16 v50, v42, 25
	v_mul_lo_u16 v52, v44, 25
	v_sub_nc_u16 v50, v59, v50
	v_sub_nc_u16 v43, v43, v52
	v_lshlrev_b32_sdwa v53, v51, v50 dst_sel:DWORD dst_unused:UNUSED_PAD src0_sel:DWORD src1_sel:BYTE_0
	v_lshlrev_b32_sdwa v52, v51, v43 dst_sel:DWORD dst_unused:UNUSED_PAD src0_sel:DWORD src1_sel:BYTE_0
	s_clause 0x3
	global_load_dwordx4 v[64:67], v53, s[12:13] offset:160
	global_load_dwordx4 v[68:71], v53, s[12:13] offset:176
	;; [unrolled: 1-line block ×4, first 2 shown]
	v_mov_b32_e32 v52, 0x47af
	v_mul_u32_u24_sdwa v53, v41, v52 dst_sel:DWORD dst_unused:UNUSED_PAD src0_sel:WORD_0 src1_sel:DWORD
	v_mul_u32_u24_sdwa v52, v40, v52 dst_sel:DWORD dst_unused:UNUSED_PAD src0_sel:WORD_0 src1_sel:DWORD
	v_lshrrev_b32_e32 v53, 16, v53
	v_lshrrev_b32_e32 v52, 16, v52
	v_sub_nc_u16 v54, v41, v53
	v_sub_nc_u16 v55, v40, v52
	v_lshrrev_b16 v54, 1, v54
	v_add_nc_u16 v53, v54, v53
	v_lshrrev_b16 v53, 4, v53
	v_mul_lo_u16 v54, v53, 25
	v_sub_nc_u16 v41, v41, v54
	v_lshrrev_b16 v54, 1, v55
	v_lshlrev_b32_sdwa v51, v51, v41 dst_sel:DWORD dst_unused:UNUSED_PAD src0_sel:DWORD src1_sel:WORD_0
	v_add_nc_u16 v52, v54, v52
	s_clause 0x1
	global_load_dwordx4 v[80:83], v51, s[12:13] offset:160
	global_load_dwordx4 v[84:87], v51, s[12:13] offset:176
	v_lshrrev_b16 v52, 4, v52
	v_mul_lo_u16 v51, v52, 25
	v_mov_b32_e32 v52, 2
	v_sub_nc_u16 v40, v40, v51
	v_lshlrev_b32_sdwa v50, v52, v50 dst_sel:DWORD dst_unused:UNUSED_PAD src0_sel:DWORD src1_sel:BYTE_0
	v_lshlrev_b32_sdwa v54, v52, v43 dst_sel:DWORD dst_unused:UNUSED_PAD src0_sel:DWORD src1_sel:BYTE_0
	v_lshlrev_b32_sdwa v41, v52, v41 dst_sel:DWORD dst_unused:UNUSED_PAD src0_sel:DWORD src1_sel:WORD_0
	v_and_b32_e32 v40, 0xffff, v40
	v_lshlrev_b32_e32 v51, 5, v40
	s_clause 0x1
	global_load_dwordx4 v[88:91], v51, s[12:13] offset:160
	global_load_dwordx4 v[92:95], v51, s[12:13] offset:176
	v_mov_b32_e32 v51, 0x1f4
	v_lshl_add_u32 v40, v40, 2, 0
	s_waitcnt vmcnt(0) lgkmcnt(0)
	s_barrier
	buffer_gl0_inv
	v_mul_u32_u24_sdwa v42, v42, v51 dst_sel:DWORD dst_unused:UNUSED_PAD src0_sel:WORD_0 src1_sel:DWORD
	v_mul_u32_u24_sdwa v44, v44, v51 dst_sel:DWORD dst_unused:UNUSED_PAD src0_sel:WORD_0 src1_sel:DWORD
	;; [unrolled: 1-line block ×3, first 2 shown]
	v_add3_u32 v43, 0, v42, v50
	v_add3_u32 v42, 0, v44, v54
	v_add3_u32 v41, 0, v51, v41
	v_mul_f32_e32 v62, v14, v69
	v_mul_f32_e32 v57, v10, v65
	;; [unrolled: 1-line block ×16, first 2 shown]
	v_fmac_f32_e32 v57, v1, v64
	v_fmac_f32_e32 v58, v23, v66
	;; [unrolled: 1-line block ×5, first 2 shown]
	v_fma_f32 v56, v31, v66, -v54
	v_fma_f32 v54, v14, v68, -v65
	v_fmac_f32_e32 v44, v24, v74
	v_fmac_f32_e32 v51, v17, v76
	v_fma_f32 v16, v25, v76, -v73
	v_fmac_f32_e32 v52, v22, v78
	v_fma_f32 v21, v30, v78, -v75
	v_add_f32_e32 v14, v2, v57
	v_add_f32_e32 v17, v58, v62
	;; [unrolled: 1-line block ×4, first 2 shown]
	v_fma_f32 v55, v10, v64, -v53
	v_fma_f32 v53, v29, v70, -v67
	;; [unrolled: 1-line block ×4, first 2 shown]
	v_sub_f32_e32 v23, v56, v54
	v_sub_f32_e32 v27, v58, v57
	;; [unrolled: 1-line block ×3, first 2 shown]
	v_add_f32_e32 v31, v44, v51
	v_sub_f32_e32 v65, v50, v44
	v_sub_f32_e32 v66, v52, v51
	v_add_f32_e32 v67, v50, v52
	v_sub_f32_e32 v68, v44, v50
	v_sub_f32_e32 v69, v51, v52
	v_add_f32_e32 v14, v14, v58
	v_fma_f32 v70, -0.5, v17, v2
	v_fma_f32 v71, -0.5, v25, v2
	v_add_f32_e32 v2, v30, v44
	v_sub_f32_e32 v19, v55, v53
	v_sub_f32_e32 v22, v57, v58
	;; [unrolled: 1-line block ×4, first 2 shown]
	v_add_f32_e32 v25, v27, v29
	v_fma_f32 v72, -0.5, v31, v3
	v_add_f32_e32 v65, v65, v66
	v_fmac_f32_e32 v3, -0.5, v67
	v_add_f32_e32 v66, v68, v69
	v_add_f32_e32 v27, v14, v62
	v_fmamk_f32 v68, v23, 0x3f737871, v71
	v_fmac_f32_e32 v71, 0xbf737871, v23
	v_add_f32_e32 v29, v2, v51
	v_mul_f32_e32 v14, v28, v81
	v_mul_f32_e32 v2, v13, v83
	;; [unrolled: 1-line block ×3, first 2 shown]
	v_add_f32_e32 v24, v22, v24
	v_fmamk_f32 v67, v19, 0xbf737871, v70
	v_fmac_f32_e32 v70, 0x3f737871, v19
	v_mul_f32_e32 v22, v45, v87
	v_sub_f32_e32 v32, v1, v21
	v_fmamk_f32 v73, v64, 0x3f737871, v3
	v_fmac_f32_e32 v3, 0xbf737871, v64
	v_mul_f32_e32 v30, v20, v81
	v_mul_f32_e32 v31, v15, v83
	;; [unrolled: 1-line block ×3, first 2 shown]
	v_fmac_f32_e32 v68, 0xbf167918, v19
	v_fmac_f32_e32 v71, 0x3f167918, v19
	;; [unrolled: 1-line block ×5, first 2 shown]
	v_mul_f32_e32 v20, v38, v91
	v_mul_f32_e32 v74, v18, v85
	v_fmac_f32_e32 v67, 0xbf167918, v23
	v_fmac_f32_e32 v70, 0x3f167918, v23
	;; [unrolled: 1-line block ×3, first 2 shown]
	v_mul_f32_e32 v23, v61, v93
	v_fmamk_f32 v69, v32, 0xbf737871, v72
	v_fmac_f32_e32 v72, 0x3f737871, v32
	v_fmac_f32_e32 v73, 0xbf167918, v32
	;; [unrolled: 1-line block ×3, first 2 shown]
	v_fma_f32 v19, v28, v80, -v30
	v_fma_f32 v13, v13, v82, -v31
	;; [unrolled: 1-line block ×3, first 2 shown]
	v_mul_f32_e32 v18, v37, v89
	v_mul_f32_e32 v32, v36, v95
	v_fmac_f32_e32 v68, 0x3e9e377a, v25
	v_fmac_f32_e32 v71, 0x3e9e377a, v25
	v_fma_f32 v25, v49, v90, -v20
	v_add_f32_e32 v20, v2, v17
	v_add_f32_e32 v76, v27, v63
	;; [unrolled: 1-line block ×3, first 2 shown]
	v_fma_f32 v15, v26, v84, -v74
	v_mul_f32_e32 v27, v48, v89
	v_mul_f32_e32 v28, v49, v91
	;; [unrolled: 1-line block ×4, first 2 shown]
	v_fma_f32 v26, v39, v92, -v23
	v_add_f32_e32 v39, v14, v22
	v_fmac_f32_e32 v67, 0x3e9e377a, v24
	v_fmac_f32_e32 v70, 0x3e9e377a, v24
	v_fma_f32 v24, v48, v88, -v18
	v_fma_f32 v23, v47, v94, -v32
	v_add_f32_e32 v18, v0, v14
	v_sub_f32_e32 v32, v19, v31
	v_fma_f32 v20, -0.5, v20, v0
	v_fmac_f32_e32 v27, v37, v88
	v_fmac_f32_e32 v28, v38, v90
	;; [unrolled: 1-line block ×3, first 2 shown]
	v_sub_f32_e32 v36, v13, v15
	v_sub_f32_e32 v37, v14, v2
	;; [unrolled: 1-line block ×5, first 2 shown]
	v_fmac_f32_e32 v0, -0.5, v39
	v_add_f32_e32 v18, v18, v2
	v_fmamk_f32 v39, v32, 0xbf737871, v20
	v_add_f32_e32 v37, v37, v38
	v_add_f32_e32 v38, v45, v46
	v_fmamk_f32 v45, v36, 0x3f737871, v0
	v_fmac_f32_e32 v0, 0xbf737871, v36
	v_fmac_f32_e32 v20, 0x3f737871, v32
	;; [unrolled: 1-line block ×3, first 2 shown]
	v_add_f32_e32 v18, v18, v17
	v_fmac_f32_e32 v39, 0xbf167918, v36
	v_fmac_f32_e32 v69, 0xbf167918, v64
	;; [unrolled: 1-line block ×9, first 2 shown]
	v_add_f32_e32 v18, v18, v22
	v_fmac_f32_e32 v39, 0x3e9e377a, v37
	v_fmac_f32_e32 v69, 0x3e9e377a, v65
	;; [unrolled: 1-line block ×5, first 2 shown]
	ds_write2_b32 v43, v76, v67 offset1:25
	ds_write2_b32 v43, v68, v71 offset0:50 offset1:75
	ds_write_b32 v43, v70 offset:400
	ds_write2_b32 v42, v77, v69 offset1:25
	ds_write2_b32 v42, v73, v3 offset0:50 offset1:75
	ds_write_b32 v42, v72 offset:400
	;; [unrolled: 3-line block ×3, first 2 shown]
	s_and_saveexec_b32 s1, s0
	s_cbranch_execz .LBB0_33
; %bb.32:
	v_add_f32_e32 v20, v28, v29
	v_add_f32_e32 v0, v27, v30
	v_sub_f32_e32 v36, v24, v23
	v_add_f32_e32 v37, v34, v27
	v_sub_f32_e32 v3, v28, v27
	v_fma_f32 v20, -0.5, v20, v34
	v_sub_f32_e32 v18, v29, v30
	v_sub_f32_e32 v32, v25, v26
	v_fma_f32 v0, -0.5, v0, v34
	v_sub_f32_e32 v34, v27, v28
	v_sub_f32_e32 v38, v30, v29
	v_fmamk_f32 v39, v36, 0x3f737871, v20
	v_fmac_f32_e32 v20, 0xbf737871, v36
	v_add_f32_e32 v37, v37, v28
	v_add_f32_e32 v3, v3, v18
	v_fmamk_f32 v18, v32, 0xbf737871, v0
	v_fmac_f32_e32 v0, 0x3f737871, v32
	v_add_f32_e32 v34, v34, v38
	v_fmac_f32_e32 v20, 0xbf167918, v32
	v_add_f32_e32 v37, v37, v29
	v_fmac_f32_e32 v18, 0x3f167918, v36
	v_fmac_f32_e32 v0, 0xbf167918, v36
	;; [unrolled: 1-line block ×4, first 2 shown]
	v_add_f32_e32 v32, v37, v30
	v_add_nc_u32_e32 v36, 0x1c00, v40
	v_fmac_f32_e32 v18, 0x3e9e377a, v3
	v_fmac_f32_e32 v0, 0x3e9e377a, v3
	v_fmac_f32_e32 v39, 0x3e9e377a, v34
	ds_write2_b32 v36, v32, v20 offset0:83 offset1:108
	ds_write2_b32 v36, v0, v18 offset0:133 offset1:158
	ds_write_b32 v40, v39 offset:7900
.LBB0_33:
	s_or_b32 exec_lo, exec_lo, s1
	v_add_f32_e32 v0, v56, v54
	v_add_f32_e32 v3, v11, v55
	v_sub_f32_e32 v18, v57, v63
	v_add_f32_e32 v36, v55, v53
	v_sub_f32_e32 v20, v58, v62
	v_fma_f32 v34, -0.5, v0, v11
	v_sub_f32_e32 v32, v55, v56
	v_sub_f32_e32 v0, v53, v54
	v_add_f32_e32 v3, v3, v56
	v_fma_f32 v36, -0.5, v36, v11
	v_fmamk_f32 v38, v18, 0x3f737871, v34
	v_fmac_f32_e32 v34, 0xbf737871, v18
	v_add_f32_e32 v11, v12, v1
	v_sub_f32_e32 v37, v56, v55
	v_sub_f32_e32 v39, v54, v53
	v_add_f32_e32 v0, v32, v0
	v_add_f32_e32 v3, v3, v54
	v_fmac_f32_e32 v38, 0x3f167918, v20
	v_fmamk_f32 v32, v20, 0xbf737871, v36
	v_fmac_f32_e32 v34, 0xbf167918, v20
	v_fmac_f32_e32 v36, 0x3f737871, v20
	v_add_f32_e32 v11, v11, v10
	v_add_f32_e32 v20, v10, v16
	;; [unrolled: 1-line block ×3, first 2 shown]
	v_fmac_f32_e32 v38, 0x3e9e377a, v0
	v_fmac_f32_e32 v32, 0x3f167918, v18
	v_add_f32_e32 v3, v37, v39
	v_fmac_f32_e32 v34, 0x3e9e377a, v0
	v_fmac_f32_e32 v36, 0xbf167918, v18
	v_add_f32_e32 v0, v11, v16
	v_fma_f32 v37, -0.5, v20, v12
	v_add_f32_e32 v11, v1, v21
	v_sub_f32_e32 v18, v50, v52
	v_fmac_f32_e32 v32, 0x3e9e377a, v3
	v_add_f32_e32 v39, v0, v21
	v_sub_f32_e32 v0, v44, v51
	v_fmac_f32_e32 v12, -0.5, v11
	v_fmamk_f32 v44, v18, 0x3f737871, v37
	v_fmac_f32_e32 v37, 0xbf737871, v18
	v_fmac_f32_e32 v36, 0x3e9e377a, v3
	v_sub_f32_e32 v3, v1, v10
	v_sub_f32_e32 v11, v21, v16
	v_fmamk_f32 v46, v0, 0xbf737871, v12
	v_fmac_f32_e32 v44, 0x3f167918, v0
	v_fmac_f32_e32 v37, 0xbf167918, v0
	;; [unrolled: 1-line block ×3, first 2 shown]
	v_add_f32_e32 v0, v13, v15
	v_sub_f32_e32 v1, v10, v1
	v_sub_f32_e32 v10, v16, v21
	v_add_f32_e32 v3, v3, v11
	v_sub_f32_e32 v48, v14, v22
	v_fma_f32 v47, -0.5, v0, v9
	v_add_f32_e32 v0, v19, v31
	v_fmac_f32_e32 v46, 0x3f167918, v18
	v_add_f32_e32 v1, v1, v10
	v_fmac_f32_e32 v44, 0x3e9e377a, v3
	v_fmac_f32_e32 v37, 0x3e9e377a, v3
	;; [unrolled: 1-line block ×3, first 2 shown]
	v_add_f32_e32 v3, v9, v19
	v_sub_f32_e32 v2, v2, v17
	v_fmac_f32_e32 v9, -0.5, v0
	v_fmamk_f32 v49, v48, 0x3f737871, v47
	v_fmac_f32_e32 v47, 0xbf737871, v48
	v_fmac_f32_e32 v46, 0x3e9e377a, v1
	;; [unrolled: 1-line block ×3, first 2 shown]
	v_add_f32_e32 v1, v3, v13
	v_sub_f32_e32 v0, v19, v13
	v_sub_f32_e32 v3, v31, v15
	v_fmamk_f32 v50, v2, 0xbf737871, v9
	v_fmac_f32_e32 v49, 0x3f167918, v2
	v_fmac_f32_e32 v47, 0xbf167918, v2
	;; [unrolled: 1-line block ×3, first 2 shown]
	v_add_nc_u32_e32 v2, 0x3e0, v60
	v_add_f32_e32 v51, v1, v15
	v_add_f32_e32 v52, v0, v3
	v_sub_f32_e32 v54, v15, v31
	s_waitcnt lgkmcnt(0)
	s_barrier
	buffer_gl0_inv
	ds_read2_b32 v[0:1], v60 offset1:125
	ds_read2_b32 v[15:16], v2 offset0:2 offset1:252
	v_add_nc_u32_e32 v2, 0x800, v60
	v_add_nc_u32_e32 v3, 0xc00, v60
	;; [unrolled: 1-line block ×3, first 2 shown]
	v_sub_f32_e32 v53, v13, v19
	v_add_nc_u32_e32 v13, 0x1400, v60
	v_add_nc_u32_e32 v19, 0x1800, v60
	ds_read2_b32 v[17:18], v2 offset0:113 offset1:238
	ds_read2_b32 v[2:3], v3 offset0:107 offset1:232
	;; [unrolled: 1-line block ×5, first 2 shown]
	ds_read_b32 v21, v33 offset:1500
	ds_read_b32 v22, v60 offset:7500
	v_fmac_f32_e32 v50, 0x3f167918, v48
	v_add_f32_e32 v53, v53, v54
	v_fmac_f32_e32 v9, 0xbf167918, v48
	v_add_f32_e32 v31, v51, v31
	v_fmac_f32_e32 v49, 0x3e9e377a, v52
	v_fmac_f32_e32 v47, 0x3e9e377a, v52
	;; [unrolled: 1-line block ×4, first 2 shown]
	s_waitcnt lgkmcnt(0)
	s_barrier
	buffer_gl0_inv
	ds_write2_b32 v43, v45, v38 offset1:25
	ds_write2_b32 v43, v32, v36 offset0:50 offset1:75
	ds_write_b32 v43, v34 offset:400
	ds_write2_b32 v42, v39, v44 offset1:25
	ds_write2_b32 v42, v46, v12 offset0:50 offset1:75
	ds_write_b32 v42, v37 offset:400
	;; [unrolled: 3-line block ×3, first 2 shown]
	s_and_saveexec_b32 s1, s0
	s_cbranch_execz .LBB0_35
; %bb.34:
	v_add_f32_e32 v9, v25, v26
	v_add_f32_e32 v12, v35, v24
	v_sub_f32_e32 v28, v28, v29
	v_add_f32_e32 v29, v24, v23
	v_sub_f32_e32 v27, v27, v30
	v_fma_f32 v9, -0.5, v9, v35
	v_add_f32_e32 v12, v12, v25
	v_sub_f32_e32 v30, v24, v25
	v_fmac_f32_e32 v35, -0.5, v29
	v_sub_f32_e32 v31, v23, v26
	v_fmamk_f32 v29, v27, 0x3f737871, v9
	v_sub_f32_e32 v24, v25, v24
	v_sub_f32_e32 v25, v26, v23
	v_add_f32_e32 v12, v12, v26
	v_fmamk_f32 v26, v28, 0xbf737871, v35
	v_fmac_f32_e32 v35, 0x3f737871, v28
	v_fmac_f32_e32 v9, 0xbf737871, v27
	;; [unrolled: 1-line block ×3, first 2 shown]
	v_add_f32_e32 v30, v30, v31
	v_fmac_f32_e32 v26, 0x3f167918, v27
	v_add_f32_e32 v24, v24, v25
	v_fmac_f32_e32 v35, 0xbf167918, v27
	v_fmac_f32_e32 v9, 0xbf167918, v28
	v_add_f32_e32 v12, v12, v23
	v_fmac_f32_e32 v29, 0x3e9e377a, v30
	v_add_nc_u32_e32 v23, 0x1c00, v40
	v_fmac_f32_e32 v26, 0x3e9e377a, v24
	v_fmac_f32_e32 v35, 0x3e9e377a, v24
	;; [unrolled: 1-line block ×3, first 2 shown]
	ds_write2_b32 v23, v12, v29 offset0:83 offset1:108
	ds_write2_b32 v23, v26, v35 offset0:133 offset1:158
	ds_write_b32 v40, v9 offset:7900
.LBB0_35:
	s_or_b32 exec_lo, exec_lo, s1
	s_waitcnt lgkmcnt(0)
	s_barrier
	buffer_gl0_inv
	s_and_saveexec_b32 s0, vcc_lo
	s_cbranch_execz .LBB0_37
; %bb.36:
	v_mul_u32_u24_e32 v9, 15, v59
	v_mul_lo_u32 v12, s2, v7
	v_lshlrev_b64 v[4:5], 3, v[4:5]
	v_add_nc_u32_e32 v56, 0x3e0, v60
	v_add_nc_u32_e32 v58, 0x1000, v60
	v_lshlrev_b32_e32 v9, 3, v9
	v_add_nc_u32_e32 v61, 0x800, v60
	v_add_nc_u32_e32 v64, 0xc00, v60
	;; [unrolled: 1-line block ×4, first 2 shown]
	s_clause 0x7
	global_load_dwordx4 v[23:26], v9, s[12:13] offset:960
	global_load_dwordx4 v[27:30], v9, s[12:13] offset:1024
	;; [unrolled: 1-line block ×7, first 2 shown]
	global_load_dwordx2 v[31:32], v9, s[12:13] offset:1072
	v_mul_lo_u32 v9, s3, v6
	v_mad_u64_u32 v[6:7], null, s2, v6, 0
	ds_read2_b32 v[54:55], v60 offset1:125
	v_add3_u32 v7, v7, v12, v9
	v_mov_b32_e32 v9, 0
	ds_read_b32 v12, v33 offset:1500
	ds_read_b32 v33, v60 offset:7500
	ds_read2_b32 v[56:57], v56 offset0:2 offset1:252
	ds_read2_b32 v[58:59], v58 offset0:101 offset1:226
	;; [unrolled: 1-line block ×4, first 2 shown]
	v_lshlrev_b64 v[6:7], 3, v[6:7]
	v_add_co_u32 v66, vcc_lo, s10, v6
	v_add_co_ci_u32_e32 v67, vcc_lo, s11, v7, vcc_lo
	v_lshlrev_b64 v[6:7], 3, v[8:9]
	v_add_co_u32 v8, vcc_lo, v66, v4
	v_add_co_ci_u32_e32 v9, vcc_lo, v67, v5, vcc_lo
	ds_read2_b32 v[4:5], v64 offset0:107 offset1:232
	v_add_co_u32 v6, vcc_lo, v8, v6
	v_add_co_ci_u32_e32 v7, vcc_lo, v9, v7, vcc_lo
	ds_read2_b32 v[8:9], v65 offset0:95 offset1:220
	v_add_co_u32 v64, vcc_lo, 0x800, v6
	v_add_co_ci_u32_e32 v65, vcc_lo, 0, v7, vcc_lo
	v_add_co_u32 v66, vcc_lo, 0x1000, v6
	v_add_co_ci_u32_e32 v67, vcc_lo, 0, v7, vcc_lo
	;; [unrolled: 2-line block ×7, first 2 shown]
	s_waitcnt vmcnt(7)
	v_mul_f32_e32 v78, v15, v26
	s_waitcnt lgkmcnt(5)
	v_mul_f32_e32 v26, v56, v26
	s_waitcnt vmcnt(6)
	v_mul_f32_e32 v79, v11, v30
	s_waitcnt vmcnt(5)
	;; [unrolled: 2-line block ×3, first 2 shown]
	v_mul_f32_e32 v82, v3, v45
	v_mul_f32_e32 v81, v20, v40
	s_waitcnt vmcnt(2)
	v_mul_f32_e32 v83, v16, v48
	s_waitcnt vmcnt(0)
	v_mul_f32_e32 v85, v22, v31
	v_mul_f32_e32 v22, v22, v32
	;; [unrolled: 1-line block ×5, first 2 shown]
	s_waitcnt lgkmcnt(4)
	v_mul_f32_e32 v30, v59, v30
	v_fma_f32 v22, v33, v31, -v22
	v_mul_f32_e32 v31, v2, v42
	v_mul_f32_e32 v2, v2, v43
	;; [unrolled: 1-line block ×4, first 2 shown]
	v_fmac_f32_e32 v85, v33, v32
	v_mul_f32_e32 v32, v10, v28
	v_mul_f32_e32 v33, v17, v34
	;; [unrolled: 1-line block ×7, first 2 shown]
	v_fmac_f32_e32 v26, v15, v25
	v_mul_f32_e32 v15, v16, v49
	v_mul_f32_e32 v16, v12, v47
	s_waitcnt lgkmcnt(1)
	v_fma_f32 v47, v5, v44, -v82
	v_fmac_f32_e32 v31, v4, v43
	v_fma_f32 v2, v4, v42, -v2
	v_mul_f32_e32 v4, v5, v45
	s_waitcnt lgkmcnt(0)
	v_mul_f32_e32 v5, v8, v51
	v_mul_f32_e32 v24, v55, v24
	;; [unrolled: 1-line block ×3, first 2 shown]
	v_fma_f32 v59, v59, v29, -v79
	v_fma_f32 v32, v58, v27, -v32
	;; [unrolled: 1-line block ×3, first 2 shown]
	v_fmac_f32_e32 v16, v21, v46
	v_fma_f32 v21, v56, v25, -v78
	v_fmac_f32_e32 v80, v61, v37
	v_fmac_f32_e32 v81, v63, v41
	;; [unrolled: 1-line block ×4, first 2 shown]
	v_fma_f32 v18, v61, v36, -v18
	v_fma_f32 v20, v63, v40, -v20
	v_fmac_f32_e32 v30, v11, v29
	v_fma_f32 v8, v8, v50, -v87
	v_fma_f32 v11, v55, v23, -v89
	v_fmac_f32_e32 v33, v60, v35
	v_fmac_f32_e32 v88, v62, v39
	;; [unrolled: 1-line block ×3, first 2 shown]
	v_fma_f32 v13, v60, v34, -v17
	v_fma_f32 v17, v62, v38, -v19
	v_fmac_f32_e32 v24, v1, v23
	v_fmac_f32_e32 v28, v10, v27
	v_fma_f32 v1, v57, v48, -v15
	v_fma_f32 v9, v9, v52, -v14
	v_fmac_f32_e32 v4, v3, v44
	v_sub_f32_e32 v3, v21, v59
	v_sub_f32_e32 v10, v80, v81
	;; [unrolled: 1-line block ×18, first 2 shown]
	v_add_f32_e32 v32, v20, v19
	v_sub_f32_e32 v34, v8, v23
	v_sub_f32_e32 v35, v25, v27
	v_add_f32_e32 v36, v5, v22
	v_add_f32_e32 v37, v28, v17
	;; [unrolled: 1-line block ×3, first 2 shown]
	v_fma_f32 v39, v54, 2.0, -v14
	v_fma_f32 v1, v1, 2.0, -v9
	;; [unrolled: 1-line block ×16, first 2 shown]
	v_fmamk_f32 v19, v29, 0x3f3504f3, v30
	v_fmamk_f32 v24, v34, 0x3f3504f3, v35
	;; [unrolled: 1-line block ×4, first 2 shown]
	v_sub_f32_e32 v31, v39, v1
	v_sub_f32_e32 v1, v9, v10
	;; [unrolled: 1-line block ×8, first 2 shown]
	v_fma_f32 v14, v14, 2.0, -v30
	v_fma_f32 v23, v3, 2.0, -v29
	;; [unrolled: 1-line block ×8, first 2 shown]
	v_fmac_f32_e32 v19, 0xbf3504f3, v32
	v_fmac_f32_e32 v24, 0xbf3504f3, v36
	;; [unrolled: 1-line block ×4, first 2 shown]
	v_sub_f32_e32 v29, v31, v1
	v_sub_f32_e32 v4, v10, v13
	v_add_f32_e32 v34, v18, v15
	v_fmamk_f32 v36, v23, 0xbf3504f3, v14
	v_fmamk_f32 v40, v8, 0xbf3504f3, v25
	;; [unrolled: 1-line block ×4, first 2 shown]
	v_fma_f32 v39, v39, 2.0, -v31
	v_fma_f32 v18, v21, 2.0, -v18
	;; [unrolled: 1-line block ×8, first 2 shown]
	v_add_f32_e32 v32, v2, v17
	v_fmamk_f32 v1, v24, 0x3f6c835e, v19
	v_fmamk_f32 v0, v26, 0x3f6c835e, v27
	;; [unrolled: 1-line block ×3, first 2 shown]
	v_fmac_f32_e32 v36, 0xbf3504f3, v20
	v_fmac_f32_e32 v40, 0xbf3504f3, v5
	;; [unrolled: 1-line block ×4, first 2 shown]
	v_sub_f32_e32 v18, v39, v18
	v_sub_f32_e32 v20, v21, v13
	;; [unrolled: 1-line block ×4, first 2 shown]
	v_fma_f32 v31, v31, 2.0, -v29
	v_fma_f32 v44, v10, 2.0, -v4
	;; [unrolled: 1-line block ×8, first 2 shown]
	v_fmamk_f32 v2, v32, 0x3f3504f3, v34
	v_fmac_f32_e32 v1, 0xbec3ef15, v26
	v_fmac_f32_e32 v0, 0x3ec3ef15, v24
	;; [unrolled: 1-line block ×3, first 2 shown]
	v_sub_f32_e32 v9, v18, v20
	v_add_f32_e32 v8, v23, v43
	v_fma_f32 v32, v14, 2.0, -v36
	v_fma_f32 v26, v25, 2.0, -v40
	v_fma_f32 v28, v28, 2.0, -v41
	v_fma_f32 v33, v33, 2.0, -v42
	v_fma_f32 v39, v39, 2.0, -v18
	v_fma_f32 v22, v22, 2.0, -v43
	v_fma_f32 v43, v16, 2.0, -v23
	v_fma_f32 v24, v21, 2.0, -v20
	v_fmamk_f32 v13, v44, 0xbf3504f3, v31
	v_fmamk_f32 v12, v45, 0xbf3504f3, v46
	;; [unrolled: 1-line block ×4, first 2 shown]
	v_fmac_f32_e32 v2, 0x3f3504f3, v4
	v_fmamk_f32 v5, v40, 0x3ec3ef15, v36
	v_fmamk_f32 v4, v41, 0x3ec3ef15, v42
	v_fma_f32 v15, v19, 2.0, -v1
	v_fma_f32 v19, v18, 2.0, -v9
	;; [unrolled: 1-line block ×3, first 2 shown]
	v_fmamk_f32 v21, v26, 0xbf6c835e, v32
	v_fmamk_f32 v20, v28, 0xbf6c835e, v33
	v_sub_f32_e32 v23, v39, v22
	v_sub_f32_e32 v22, v43, v24
	v_fmac_f32_e32 v13, 0xbf3504f3, v45
	v_fmac_f32_e32 v12, 0x3f3504f3, v44
	;; [unrolled: 1-line block ×6, first 2 shown]
	v_fma_f32 v14, v27, 2.0, -v0
	v_fmac_f32_e32 v21, 0xbec3ef15, v28
	v_fmac_f32_e32 v20, 0x3ec3ef15, v26
	v_fma_f32 v27, v39, 2.0, -v23
	v_fma_f32 v26, v43, 2.0, -v22
	v_fma_f32 v17, v29, 2.0, -v3
	v_fma_f32 v16, v34, 2.0, -v2
	v_fma_f32 v25, v31, 2.0, -v13
	v_fma_f32 v24, v46, 2.0, -v12
	global_store_dwordx2 v[72:73], v[8:9], off offset:1760
	global_store_dwordx2 v[74:75], v[2:3], off offset:1712
	v_fma_f32 v9, v30, 2.0, -v11
	v_fma_f32 v8, v38, 2.0, -v10
	;; [unrolled: 1-line block ×4, first 2 shown]
	global_store_dwordx2 v[64:65], v[18:19], off offset:1952
	global_store_dwordx2 v[66:67], v[16:17], off offset:1904
	global_store_dwordx2 v[68:69], v[14:15], off offset:856
	global_store_dwordx2 v[68:69], v[22:23], off offset:1856
	global_store_dwordx2 v[70:71], v[12:13], off offset:1808
	global_store_dwordx2 v[72:73], v[10:11], off offset:760
	global_store_dwordx2 v[74:75], v[4:5], off offset:712
	v_fma_f32 v5, v32, 2.0, -v21
	v_fma_f32 v4, v33, 2.0, -v20
	global_store_dwordx2 v[6:7], v[26:27], off
	global_store_dwordx2 v[6:7], v[24:25], off offset:2000
	global_store_dwordx2 v[64:65], v[8:9], off offset:952
	;; [unrolled: 1-line block ×6, first 2 shown]
.LBB0_37:
	s_endpgm
	.section	.rodata,"a",@progbits
	.p2align	6, 0x0
	.amdhsa_kernel fft_rtc_back_len2000_factors_5_5_5_16_wgs_125_tpt_125_halfLds_sp_op_CI_CI_unitstride_sbrr_dirReg
		.amdhsa_group_segment_fixed_size 0
		.amdhsa_private_segment_fixed_size 0
		.amdhsa_kernarg_size 104
		.amdhsa_user_sgpr_count 6
		.amdhsa_user_sgpr_private_segment_buffer 1
		.amdhsa_user_sgpr_dispatch_ptr 0
		.amdhsa_user_sgpr_queue_ptr 0
		.amdhsa_user_sgpr_kernarg_segment_ptr 1
		.amdhsa_user_sgpr_dispatch_id 0
		.amdhsa_user_sgpr_flat_scratch_init 0
		.amdhsa_user_sgpr_private_segment_size 0
		.amdhsa_wavefront_size32 1
		.amdhsa_uses_dynamic_stack 0
		.amdhsa_system_sgpr_private_segment_wavefront_offset 0
		.amdhsa_system_sgpr_workgroup_id_x 1
		.amdhsa_system_sgpr_workgroup_id_y 0
		.amdhsa_system_sgpr_workgroup_id_z 0
		.amdhsa_system_sgpr_workgroup_info 0
		.amdhsa_system_vgpr_workitem_id 0
		.amdhsa_next_free_vgpr 98
		.amdhsa_next_free_sgpr 27
		.amdhsa_reserve_vcc 1
		.amdhsa_reserve_flat_scratch 0
		.amdhsa_float_round_mode_32 0
		.amdhsa_float_round_mode_16_64 0
		.amdhsa_float_denorm_mode_32 3
		.amdhsa_float_denorm_mode_16_64 3
		.amdhsa_dx10_clamp 1
		.amdhsa_ieee_mode 1
		.amdhsa_fp16_overflow 0
		.amdhsa_workgroup_processor_mode 1
		.amdhsa_memory_ordered 1
		.amdhsa_forward_progress 0
		.amdhsa_shared_vgpr_count 0
		.amdhsa_exception_fp_ieee_invalid_op 0
		.amdhsa_exception_fp_denorm_src 0
		.amdhsa_exception_fp_ieee_div_zero 0
		.amdhsa_exception_fp_ieee_overflow 0
		.amdhsa_exception_fp_ieee_underflow 0
		.amdhsa_exception_fp_ieee_inexact 0
		.amdhsa_exception_int_div_zero 0
	.end_amdhsa_kernel
	.text
.Lfunc_end0:
	.size	fft_rtc_back_len2000_factors_5_5_5_16_wgs_125_tpt_125_halfLds_sp_op_CI_CI_unitstride_sbrr_dirReg, .Lfunc_end0-fft_rtc_back_len2000_factors_5_5_5_16_wgs_125_tpt_125_halfLds_sp_op_CI_CI_unitstride_sbrr_dirReg
                                        ; -- End function
	.section	.AMDGPU.csdata,"",@progbits
; Kernel info:
; codeLenInByte = 10708
; NumSgprs: 29
; NumVgprs: 98
; ScratchSize: 0
; MemoryBound: 0
; FloatMode: 240
; IeeeMode: 1
; LDSByteSize: 0 bytes/workgroup (compile time only)
; SGPRBlocks: 3
; VGPRBlocks: 12
; NumSGPRsForWavesPerEU: 29
; NumVGPRsForWavesPerEU: 98
; Occupancy: 9
; WaveLimiterHint : 1
; COMPUTE_PGM_RSRC2:SCRATCH_EN: 0
; COMPUTE_PGM_RSRC2:USER_SGPR: 6
; COMPUTE_PGM_RSRC2:TRAP_HANDLER: 0
; COMPUTE_PGM_RSRC2:TGID_X_EN: 1
; COMPUTE_PGM_RSRC2:TGID_Y_EN: 0
; COMPUTE_PGM_RSRC2:TGID_Z_EN: 0
; COMPUTE_PGM_RSRC2:TIDIG_COMP_CNT: 0
	.text
	.p2alignl 6, 3214868480
	.fill 48, 4, 3214868480
	.type	__hip_cuid_b4c54c6b5a0ff847,@object ; @__hip_cuid_b4c54c6b5a0ff847
	.section	.bss,"aw",@nobits
	.globl	__hip_cuid_b4c54c6b5a0ff847
__hip_cuid_b4c54c6b5a0ff847:
	.byte	0                               ; 0x0
	.size	__hip_cuid_b4c54c6b5a0ff847, 1

	.ident	"AMD clang version 19.0.0git (https://github.com/RadeonOpenCompute/llvm-project roc-6.4.0 25133 c7fe45cf4b819c5991fe208aaa96edf142730f1d)"
	.section	".note.GNU-stack","",@progbits
	.addrsig
	.addrsig_sym __hip_cuid_b4c54c6b5a0ff847
	.amdgpu_metadata
---
amdhsa.kernels:
  - .args:
      - .actual_access:  read_only
        .address_space:  global
        .offset:         0
        .size:           8
        .value_kind:     global_buffer
      - .offset:         8
        .size:           8
        .value_kind:     by_value
      - .actual_access:  read_only
        .address_space:  global
        .offset:         16
        .size:           8
        .value_kind:     global_buffer
      - .actual_access:  read_only
        .address_space:  global
        .offset:         24
        .size:           8
        .value_kind:     global_buffer
      - .actual_access:  read_only
        .address_space:  global
        .offset:         32
        .size:           8
        .value_kind:     global_buffer
      - .offset:         40
        .size:           8
        .value_kind:     by_value
      - .actual_access:  read_only
        .address_space:  global
        .offset:         48
        .size:           8
        .value_kind:     global_buffer
      - .actual_access:  read_only
        .address_space:  global
        .offset:         56
        .size:           8
        .value_kind:     global_buffer
      - .offset:         64
        .size:           4
        .value_kind:     by_value
      - .actual_access:  read_only
        .address_space:  global
        .offset:         72
        .size:           8
        .value_kind:     global_buffer
      - .actual_access:  read_only
        .address_space:  global
        .offset:         80
        .size:           8
        .value_kind:     global_buffer
      - .actual_access:  read_only
        .address_space:  global
        .offset:         88
        .size:           8
        .value_kind:     global_buffer
      - .actual_access:  write_only
        .address_space:  global
        .offset:         96
        .size:           8
        .value_kind:     global_buffer
    .group_segment_fixed_size: 0
    .kernarg_segment_align: 8
    .kernarg_segment_size: 104
    .language:       OpenCL C
    .language_version:
      - 2
      - 0
    .max_flat_workgroup_size: 125
    .name:           fft_rtc_back_len2000_factors_5_5_5_16_wgs_125_tpt_125_halfLds_sp_op_CI_CI_unitstride_sbrr_dirReg
    .private_segment_fixed_size: 0
    .sgpr_count:     29
    .sgpr_spill_count: 0
    .symbol:         fft_rtc_back_len2000_factors_5_5_5_16_wgs_125_tpt_125_halfLds_sp_op_CI_CI_unitstride_sbrr_dirReg.kd
    .uniform_work_group_size: 1
    .uses_dynamic_stack: false
    .vgpr_count:     98
    .vgpr_spill_count: 0
    .wavefront_size: 32
    .workgroup_processor_mode: 1
amdhsa.target:   amdgcn-amd-amdhsa--gfx1030
amdhsa.version:
  - 1
  - 2
...

	.end_amdgpu_metadata
